;; amdgpu-corpus repo=ROCm/rocFFT kind=compiled arch=gfx1030 opt=O3
	.text
	.amdgcn_target "amdgcn-amd-amdhsa--gfx1030"
	.amdhsa_code_object_version 6
	.protected	fft_rtc_back_len240_factors_8_5_6_wgs_384_tpt_48_sp_op_CI_CI_sbcc_dirReg_intrinsicRead ; -- Begin function fft_rtc_back_len240_factors_8_5_6_wgs_384_tpt_48_sp_op_CI_CI_sbcc_dirReg_intrinsicRead
	.globl	fft_rtc_back_len240_factors_8_5_6_wgs_384_tpt_48_sp_op_CI_CI_sbcc_dirReg_intrinsicRead
	.p2align	8
	.type	fft_rtc_back_len240_factors_8_5_6_wgs_384_tpt_48_sp_op_CI_CI_sbcc_dirReg_intrinsicRead,@function
fft_rtc_back_len240_factors_8_5_6_wgs_384_tpt_48_sp_op_CI_CI_sbcc_dirReg_intrinsicRead: ; @fft_rtc_back_len240_factors_8_5_6_wgs_384_tpt_48_sp_op_CI_CI_sbcc_dirReg_intrinsicRead
; %bb.0:
	s_clause 0x1
	s_load_dwordx4 s[0:3], s[4:5], 0x18
	s_load_dwordx2 s[26:27], s[4:5], 0x28
	s_mov_b32 s7, 0
	s_mov_b64 s[22:23], 0
	s_waitcnt lgkmcnt(0)
	s_load_dwordx2 s[24:25], s[0:1], 0x8
	s_waitcnt lgkmcnt(0)
	s_add_u32 s8, s24, -1
	s_addc_u32 s9, s25, -1
	s_lshr_b64 s[8:9], s[8:9], 3
	s_add_u32 s28, s8, 1
	s_addc_u32 s29, s9, 0
	v_cmp_lt_u64_e64 s8, s[6:7], s[28:29]
	s_and_b32 vcc_lo, exec_lo, s8
	s_cbranch_vccnz .LBB0_2
; %bb.1:
	v_cvt_f32_u32_e32 v1, s28
	s_sub_i32 s9, 0, s28
	s_mov_b32 s23, s7
	v_rcp_iflag_f32_e32 v1, v1
	v_mul_f32_e32 v1, 0x4f7ffffe, v1
	v_cvt_u32_f32_e32 v1, v1
	v_readfirstlane_b32 s8, v1
	s_mul_i32 s9, s9, s8
	s_mul_hi_u32 s9, s8, s9
	s_add_i32 s8, s8, s9
	s_mul_hi_u32 s8, s6, s8
	s_mul_i32 s9, s8, s28
	s_add_i32 s10, s8, 1
	s_sub_i32 s9, s6, s9
	s_sub_i32 s11, s9, s28
	s_cmp_ge_u32 s9, s28
	s_cselect_b32 s8, s10, s8
	s_cselect_b32 s9, s11, s9
	s_add_i32 s10, s8, 1
	s_cmp_ge_u32 s9, s28
	s_cselect_b32 s22, s10, s8
.LBB0_2:
	s_load_dwordx4 s[16:19], s[2:3], 0x0
	s_load_dwordx4 s[8:11], s[26:27], 0x0
	s_load_dwordx2 s[30:31], s[4:5], 0x10
	s_mul_i32 s12, s22, s29
	s_mul_hi_u32 s13, s22, s28
	s_mul_i32 s14, s22, s28
	s_add_i32 s13, s13, s12
	s_sub_u32 s34, s6, s14
	s_subb_u32 s35, 0, s13
	s_clause 0x1
	s_load_dwordx2 s[20:21], s[4:5], 0x0
	s_load_dwordx4 s[12:15], s[4:5], 0x60
	v_alignbit_b32 v1, s35, s34, 29
	s_lshl_b64 s[4:5], s[34:35], 3
	s_waitcnt lgkmcnt(0)
	v_mul_lo_u32 v2, s18, v1
	v_mul_lo_u32 v1, s10, v1
	s_mul_hi_u32 s17, s18, s4
	s_mul_hi_u32 s34, s10, s4
	v_cmp_lt_u64_e64 s36, s[30:31], 3
	s_mul_i32 s19, s19, s4
	s_mul_i32 s33, s18, s4
	;; [unrolled: 1-line block ×3, first 2 shown]
	v_add_nc_u32_e32 v2, s17, v2
	v_add_nc_u32_e32 v3, s34, v1
	s_mul_i32 s17, s10, s4
	v_mov_b32_e32 v1, s33
	v_mov_b32_e32 v12, s17
	v_add_nc_u32_e32 v2, s19, v2
	v_add_nc_u32_e32 v13, s35, v3
	s_and_b32 vcc_lo, exec_lo, s36
	s_cbranch_vccnz .LBB0_11
; %bb.3:
	s_add_u32 s34, s26, 16
	s_addc_u32 s35, s27, 0
	s_add_u32 s36, s2, 16
	s_addc_u32 s37, s3, 0
	;; [unrolled: 2-line block ×3, first 2 shown]
	s_mov_b64 s[38:39], 2
	s_mov_b32 s40, 0
	s_branch .LBB0_5
.LBB0_4:                                ;   in Loop: Header=BB0_5 Depth=1
	s_load_dwordx2 s[46:47], s[36:37], 0x0
	s_load_dwordx2 s[48:49], s[34:35], 0x0
	s_mul_i32 s17, s42, s29
	s_mul_hi_u32 s19, s42, s28
	s_mul_i32 s33, s44, s43
	s_mul_hi_u32 s41, s44, s42
	s_mul_i32 s29, s43, s28
	s_mul_i32 s43, s45, s42
	s_add_i32 s17, s19, s17
	s_add_i32 s19, s41, s33
	s_mul_i32 s50, s44, s42
	s_add_i32 s29, s17, s29
	s_add_i32 s19, s19, s43
	s_sub_u32 s17, s22, s50
	s_subb_u32 s19, s23, s19
	s_mul_i32 s28, s42, s28
	s_waitcnt lgkmcnt(0)
	s_mul_i32 s22, s46, s19
	s_mul_hi_u32 s23, s46, s17
	s_mul_i32 s19, s48, s19
	s_mul_hi_u32 s42, s48, s17
	s_mul_i32 s33, s47, s17
	s_add_i32 s22, s23, s22
	s_add_i32 s19, s42, s19
	s_mul_i32 s23, s49, s17
	s_mul_i32 s41, s46, s17
	s_add_i32 s22, s22, s33
	s_add_i32 s19, s19, s23
	v_add_co_u32 v1, vcc_lo, s41, v1
	s_add_u32 s38, s38, 1
	s_mul_i32 s17, s48, s17
	s_addc_u32 s39, s39, 0
	v_add_co_ci_u32_e32 v2, vcc_lo, s22, v2, vcc_lo
	v_add_co_u32 v12, vcc_lo, s17, v12
	v_cmp_ge_u64_e64 s17, s[38:39], s[30:31]
	s_add_u32 s34, s34, 8
	s_addc_u32 s35, s35, 0
	v_add_co_ci_u32_e32 v13, vcc_lo, s19, v13, vcc_lo
	s_add_u32 s36, s36, 8
	s_addc_u32 s37, s37, 0
	s_add_u32 s0, s0, 8
	s_addc_u32 s1, s1, 0
	s_and_b32 vcc_lo, exec_lo, s17
	s_mov_b64 s[22:23], s[44:45]
	s_cbranch_vccnz .LBB0_9
.LBB0_5:                                ; =>This Inner Loop Header: Depth=1
	s_load_dwordx2 s[42:43], s[0:1], 0x0
	s_mov_b32 s17, -1
	s_waitcnt lgkmcnt(0)
	s_or_b64 s[44:45], s[22:23], s[42:43]
	s_mov_b32 s41, s45
                                        ; implicit-def: $sgpr44_sgpr45
	s_cmp_lg_u64 s[40:41], 0
	s_cbranch_scc0 .LBB0_7
; %bb.6:                                ;   in Loop: Header=BB0_5 Depth=1
	v_cvt_f32_u32_e32 v3, s42
	v_cvt_f32_u32_e32 v4, s43
	s_sub_u32 s33, 0, s42
	s_subb_u32 s41, 0, s43
	v_fmac_f32_e32 v3, 0x4f800000, v4
	v_rcp_f32_e32 v3, v3
	v_mul_f32_e32 v3, 0x5f7ffffc, v3
	v_mul_f32_e32 v4, 0x2f800000, v3
	v_trunc_f32_e32 v4, v4
	v_fmac_f32_e32 v3, 0xcf800000, v4
	v_cvt_u32_f32_e32 v4, v4
	v_cvt_u32_f32_e32 v3, v3
	v_readfirstlane_b32 s17, v4
	v_readfirstlane_b32 s19, v3
	s_mul_i32 s44, s33, s17
	s_mul_hi_u32 s46, s33, s19
	s_mul_i32 s45, s41, s19
	s_add_i32 s44, s46, s44
	s_mul_i32 s47, s33, s19
	s_add_i32 s44, s44, s45
	s_mul_hi_u32 s46, s19, s47
	s_mul_hi_u32 s48, s17, s47
	s_mul_i32 s45, s17, s47
	s_mul_hi_u32 s47, s19, s44
	s_mul_i32 s19, s19, s44
	s_mul_hi_u32 s49, s17, s44
	s_add_u32 s19, s46, s19
	s_addc_u32 s46, 0, s47
	s_add_u32 s19, s19, s45
	s_mul_i32 s44, s17, s44
	s_addc_u32 s19, s46, s48
	s_addc_u32 s45, s49, 0
	s_add_u32 s19, s19, s44
	s_addc_u32 s44, 0, s45
	v_add_co_u32 v3, s19, v3, s19
	s_cmp_lg_u32 s19, 0
	s_addc_u32 s17, s17, s44
	v_readfirstlane_b32 s19, v3
	s_mul_i32 s44, s33, s17
	s_mul_hi_u32 s45, s33, s19
	s_mul_i32 s41, s41, s19
	s_add_i32 s44, s45, s44
	s_mul_i32 s33, s33, s19
	s_add_i32 s44, s44, s41
	s_mul_hi_u32 s45, s17, s33
	s_mul_i32 s46, s17, s33
	s_mul_hi_u32 s33, s19, s33
	s_mul_hi_u32 s47, s19, s44
	s_mul_i32 s19, s19, s44
	s_mul_hi_u32 s41, s17, s44
	s_add_u32 s19, s33, s19
	s_addc_u32 s33, 0, s47
	s_add_u32 s19, s19, s46
	s_mul_i32 s44, s17, s44
	s_addc_u32 s19, s33, s45
	s_addc_u32 s33, s41, 0
	s_add_u32 s19, s19, s44
	s_addc_u32 s33, 0, s33
	v_add_co_u32 v3, s19, v3, s19
	s_cmp_lg_u32 s19, 0
	s_addc_u32 s17, s17, s33
	v_readfirstlane_b32 s19, v3
	s_mul_i32 s41, s22, s17
	s_mul_hi_u32 s33, s22, s17
	s_mul_hi_u32 s44, s23, s17
	s_mul_i32 s17, s23, s17
	s_mul_hi_u32 s45, s22, s19
	s_mul_hi_u32 s46, s23, s19
	s_mul_i32 s19, s23, s19
	s_add_u32 s41, s45, s41
	s_addc_u32 s33, 0, s33
	s_add_u32 s19, s41, s19
	s_addc_u32 s19, s33, s46
	s_addc_u32 s33, s44, 0
	s_add_u32 s19, s19, s17
	s_addc_u32 s33, 0, s33
	s_mul_hi_u32 s17, s42, s19
	s_mul_i32 s44, s42, s33
	s_mul_i32 s45, s42, s19
	s_add_i32 s17, s17, s44
	v_sub_co_u32 v3, s44, s22, s45
	s_mul_i32 s41, s43, s19
	s_add_i32 s17, s17, s41
	v_sub_co_u32 v4, s45, v3, s42
	s_sub_i32 s41, s23, s17
	s_cmp_lg_u32 s44, 0
	s_subb_u32 s41, s41, s43
	s_cmp_lg_u32 s45, 0
	v_readfirstlane_b32 s45, v4
	s_subb_u32 s41, s41, 0
	s_cmp_ge_u32 s41, s43
	s_cselect_b32 s46, -1, 0
	s_cmp_ge_u32 s45, s42
	s_cselect_b32 s45, -1, 0
	s_cmp_eq_u32 s41, s43
	s_cselect_b32 s41, s45, s46
	s_add_u32 s45, s19, 1
	s_addc_u32 s46, s33, 0
	s_add_u32 s47, s19, 2
	s_addc_u32 s48, s33, 0
	s_cmp_lg_u32 s41, 0
	s_cselect_b32 s41, s47, s45
	s_cselect_b32 s45, s48, s46
	s_cmp_lg_u32 s44, 0
	v_readfirstlane_b32 s44, v3
	s_subb_u32 s17, s23, s17
	s_cmp_ge_u32 s17, s43
	s_cselect_b32 s46, -1, 0
	s_cmp_ge_u32 s44, s42
	s_cselect_b32 s44, -1, 0
	s_cmp_eq_u32 s17, s43
	s_cselect_b32 s17, s44, s46
	s_cmp_lg_u32 s17, 0
	s_mov_b32 s17, 0
	s_cselect_b32 s45, s45, s33
	s_cselect_b32 s44, s41, s19
.LBB0_7:                                ;   in Loop: Header=BB0_5 Depth=1
	s_andn2_b32 vcc_lo, exec_lo, s17
	s_cbranch_vccnz .LBB0_4
; %bb.8:                                ;   in Loop: Header=BB0_5 Depth=1
	v_cvt_f32_u32_e32 v3, s42
	s_sub_i32 s19, 0, s42
	s_mov_b32 s45, s40
	v_rcp_iflag_f32_e32 v3, v3
	v_mul_f32_e32 v3, 0x4f7ffffe, v3
	v_cvt_u32_f32_e32 v3, v3
	v_readfirstlane_b32 s17, v3
	s_mul_i32 s19, s19, s17
	s_mul_hi_u32 s19, s17, s19
	s_add_i32 s17, s17, s19
	s_mul_hi_u32 s17, s22, s17
	s_mul_i32 s19, s17, s42
	s_add_i32 s33, s17, 1
	s_sub_i32 s19, s22, s19
	s_sub_i32 s41, s19, s42
	s_cmp_ge_u32 s19, s42
	s_cselect_b32 s17, s33, s17
	s_cselect_b32 s19, s41, s19
	s_add_i32 s33, s17, 1
	s_cmp_ge_u32 s19, s42
	s_cselect_b32 s44, s33, s17
	s_branch .LBB0_4
.LBB0_9:
	v_cmp_lt_u64_e64 s0, s[6:7], s[28:29]
	s_mov_b64 s[22:23], 0
	s_and_b32 vcc_lo, exec_lo, s0
	s_cbranch_vccnz .LBB0_11
; %bb.10:
	v_cvt_f32_u32_e32 v2, s28
	s_sub_i32 s1, 0, s28
	v_rcp_iflag_f32_e32 v2, v2
	v_mul_f32_e32 v2, 0x4f7ffffe, v2
	v_cvt_u32_f32_e32 v2, v2
	v_readfirstlane_b32 s0, v2
	s_mul_i32 s1, s1, s0
	s_mul_hi_u32 s1, s0, s1
	s_add_i32 s0, s0, s1
	s_mul_hi_u32 s0, s6, s0
	s_mul_i32 s1, s0, s28
	s_sub_i32 s1, s6, s1
	s_add_i32 s6, s0, 1
	s_sub_i32 s7, s1, s28
	s_cmp_ge_u32 s1, s28
	s_cselect_b32 s0, s6, s0
	s_cselect_b32 s1, s7, s1
	s_add_i32 s6, s0, 1
	s_cmp_ge_u32 s1, s28
	s_cselect_b32 s22, s6, s0
.LBB0_11:
	v_and_b32_e32 v17, 7, v0
	s_lshl_b64 s[0:1], s[30:31], 3
	v_mov_b32_e32 v3, s5
	s_add_u32 s6, s2, s0
	s_addc_u32 s7, s3, s1
	v_or_b32_e32 v2, s4, v17
	v_cmp_gt_u32_e32 vcc_lo, 0xf0, v0
	s_load_dword s6, s[6:7], 0x0
	s_add_u32 s2, s26, s0
	s_addc_u32 s3, s27, s1
	s_add_u32 s0, s4, 8
	v_cndmask_b32_e64 v4, 0, 1, vcc_lo
	v_cmp_gt_u64_e32 vcc_lo, s[24:25], v[2:3]
	s_addc_u32 s1, s5, 0
	v_lshrrev_b32_e32 v16, 3, v0
	v_cmp_le_u64_e64 s17, s[0:1], s[24:25]
	v_cmp_lt_u32_e64 s0, 0xef, v0
	v_mul_lo_u32 v3, s18, v17
	v_cndmask_b32_e64 v2, 0, 1, vcc_lo
	v_mul_lo_u32 v5, s16, v16
	v_add_nc_u32_e32 v6, 60, v16
	s_or_b32 s1, s0, s17
	s_mov_b32 s4, s12
	v_cndmask_b32_e64 v2, v2, v4, s1
	v_add_nc_u32_e32 v4, 30, v16
	v_mul_lo_u32 v6, s16, v6
	v_add_nc_u32_e32 v18, 0x78, v16
	s_waitcnt lgkmcnt(0)
	s_mul_i32 s6, s6, s22
	v_and_b32_e32 v2, 1, v2
	v_add_nc_u32_e32 v1, s6, v1
	v_add_lshl_u32 v5, v3, v5, 3
	v_mul_lo_u32 v4, s16, v4
	v_add_nc_u32_e32 v7, 0x96, v16
	v_cmp_eq_u32_e64 s1, 1, v2
	v_lshlrev_b32_e32 v1, 3, v1
	v_add_nc_u32_e32 v9, 0xd2, v16
	v_mul_lo_u32 v8, s16, v18
	s_mov_b32 s7, 0x31014000
	v_cndmask_b32_e64 v2, -1, v5, s1
	v_add_lshl_u32 v5, v3, v6, 3
	v_readfirstlane_b32 s12, v1
	v_add_lshl_u32 v1, v3, v4, 3
	v_add_nc_u32_e32 v4, 0xb4, v16
	s_mov_b32 s6, -2
	v_cndmask_b32_e64 v6, -1, v5, s1
	v_add_nc_u32_e32 v5, 0x5a, v16
	s_mov_b32 s5, s13
	v_mul_lo_u32 v10, s16, v4
	v_mul_lo_u32 v14, s16, v7
	buffer_load_dwordx2 v[6:7], v6, s[4:7], s12 offen
	v_mul_lo_u32 v11, s16, v5
	buffer_load_dwordx2 v[4:5], v2, s[4:7], s12 offen
	v_mul_lo_u32 v2, s16, v9
	v_cndmask_b32_e64 v9, -1, v1, s1
	v_add_lshl_u32 v1, v3, v8, 3
	v_add_lshl_u32 v8, v3, v10, 3
	;; [unrolled: 1-line block ×5, first 2 shown]
	v_cndmask_b32_e64 v1, -1, v1, s1
	v_cndmask_b32_e64 v8, -1, v8, s1
	v_cndmask_b32_e64 v10, -1, v10, s1
	v_cndmask_b32_e64 v11, -1, v11, s1
	v_cndmask_b32_e64 v3, -1, v3, s1
	s_clause 0x5
	buffer_load_dwordx2 v[1:2], v1, s[4:7], s12 offen
	buffer_load_dwordx2 v[14:15], v8, s[4:7], s12 offen
	;; [unrolled: 1-line block ×6, first 2 shown]
	s_waitcnt vmcnt(4)
	v_sub_f32_e32 v21, v6, v14
	v_sub_f32_e32 v27, v7, v15
	s_waitcnt vmcnt(2)
	v_sub_f32_e32 v28, v8, v19
	v_sub_f32_e32 v22, v4, v1
	;; [unrolled: 1-line block ×4, first 2 shown]
	s_waitcnt vmcnt(0)
	v_sub_f32_e32 v24, v11, v30
	v_sub_f32_e32 v30, v10, v29
	v_add_f32_e32 v15, v22, v27
	v_sub_f32_e32 v26, v25, v21
	v_lshlrev_b32_e32 v14, 6, v16
	v_add_f32_e32 v31, v28, v24
	v_sub_f32_e32 v29, v23, v30
	v_fma_f32 v19, v22, 2.0, -v15
	v_fma_f32 v20, v25, 2.0, -v26
	;; [unrolled: 1-line block ×4, first 2 shown]
	v_fmamk_f32 v2, v1, 0xbf3504f3, v19
	v_fmamk_f32 v3, v32, 0xbf3504f3, v20
	s_and_saveexec_b32 s1, s0
	s_xor_b32 s0, exec_lo, s1
; %bb.12:
	v_lshlrev_b32_e32 v14, 6, v16
                                        ; implicit-def: $vgpr22
                                        ; implicit-def: $vgpr25
                                        ; implicit-def: $vgpr21
                                        ; implicit-def: $vgpr27
                                        ; implicit-def: $vgpr28
                                        ; implicit-def: $vgpr23
                                        ; implicit-def: $vgpr30
                                        ; implicit-def: $vgpr24
                                        ; implicit-def: $vgpr15
                                        ; implicit-def: $vgpr26
                                        ; implicit-def: $vgpr19
                                        ; implicit-def: $vgpr20
                                        ; implicit-def: $vgpr31
                                        ; implicit-def: $vgpr29
                                        ; implicit-def: $vgpr4_vgpr5
                                        ; implicit-def: $vgpr8_vgpr9
                                        ; implicit-def: $vgpr6_vgpr7
                                        ; implicit-def: $vgpr10_vgpr11
; %bb.13:
	s_or_saveexec_b32 s0, s0
	s_load_dwordx2 s[2:3], s[2:3], 0x0
	v_fmac_f32_e32 v2, 0x3f3504f3, v32
	v_fmac_f32_e32 v3, 0xbf3504f3, v1
	v_lshlrev_b32_e32 v1, 3, v17
	s_xor_b32 exec_lo, exec_lo, s0
	s_cbranch_execz .LBB0_15
; %bb.14:
	v_fma_f32 v25, v5, 2.0, -v25
	v_fma_f32 v5, v7, 2.0, -v27
	;; [unrolled: 1-line block ×8, first 2 shown]
	v_sub_f32_e32 v11, v25, v5
	v_sub_f32_e32 v21, v8, v7
	v_fmamk_f32 v32, v31, 0x3f3504f3, v15
	v_sub_f32_e32 v10, v9, v10
	v_sub_f32_e32 v23, v4, v6
	v_fma_f32 v22, v25, 2.0, -v11
	v_sub_f32_e32 v7, v11, v21
	v_fma_f32 v8, v8, 2.0, -v21
	v_fma_f32 v24, v9, 2.0, -v10
	;; [unrolled: 1-line block ×3, first 2 shown]
	v_fmamk_f32 v33, v29, 0x3f3504f3, v26
	v_fmac_f32_e32 v32, 0x3f3504f3, v29
	v_fma_f32 v9, v11, 2.0, -v7
	v_add_f32_e32 v6, v23, v10
	v_sub_f32_e32 v11, v22, v24
	v_sub_f32_e32 v10, v25, v8
	v_lshlrev_b32_e32 v8, 9, v16
	v_fmamk_f32 v33, v31, 0xbf3504f3, v33
	v_fma_f32 v4, v15, 2.0, -v32
	v_fma_f32 v20, v20, 2.0, -v3
	;; [unrolled: 1-line block ×5, first 2 shown]
	v_add3_u32 v15, 0, v8, v1
	v_fma_f32 v5, v26, 2.0, -v33
	v_fma_f32 v8, v23, 2.0, -v6
	ds_write2_b64 v15, v[21:22], v[19:20] offset1:8
	ds_write2_b64 v15, v[8:9], v[4:5] offset0:16 offset1:24
	ds_write2_b64 v15, v[10:11], v[2:3] offset0:32 offset1:40
	;; [unrolled: 1-line block ×3, first 2 shown]
.LBB0_15:
	s_or_b32 exec_lo, exec_lo, s0
	v_bfe_u32 v4, v0, 3, 3
	s_waitcnt lgkmcnt(0)
	s_barrier
	buffer_gl0_inv
	v_add3_u32 v14, 0, v14, v1
	v_lshlrev_b32_e32 v5, 5, v4
	v_cmp_gt_u32_e64 s0, 0x140, v0
	s_clause 0x1
	global_load_dwordx4 v[8:11], v5, s[20:21]
	global_load_dwordx4 v[19:22], v5, s[20:21] offset:16
	v_lshrrev_b32_e32 v5, 6, v0
	ds_read2st64_b64 v[23:26], v14 offset0:6 offset1:12
	ds_read2st64_b64 v[27:30], v14 offset0:18 offset1:24
	ds_read2_b32 v[6:7], v14 offset1:1
	s_waitcnt vmcnt(0) lgkmcnt(0)
	s_barrier
	v_mul_u32_u24_e32 v5, 40, v5
	buffer_gl0_inv
	v_or_b32_e32 v4, v5, v4
	v_lshlrev_b32_e32 v4, 6, v4
	v_add3_u32 v15, 0, v4, v1
	v_mul_f32_e32 v0, v9, v24
	v_mul_f32_e32 v1, v9, v23
	;; [unrolled: 1-line block ×8, first 2 shown]
	v_fmac_f32_e32 v0, v8, v23
	v_fma_f32 v1, v8, v24, -v1
	v_fmac_f32_e32 v4, v10, v25
	v_fma_f32 v5, v10, v26, -v5
	;; [unrolled: 2-line block ×3, first 2 shown]
	v_fma_f32 v8, v19, v28, -v11
	v_fmac_f32_e32 v20, v21, v29
	v_add_f32_e32 v10, v0, v6
	v_add_f32_e32 v11, v4, v9
	;; [unrolled: 1-line block ×6, first 2 shown]
	v_sub_f32_e32 v19, v1, v22
	v_sub_f32_e32 v21, v5, v8
	;; [unrolled: 1-line block ×10, first 2 shown]
	v_add_f32_e32 v4, v10, v4
	v_fma_f32 v0, -0.5, v11, v6
	v_fma_f32 v6, -0.5, v25, v6
	v_add_f32_e32 v5, v28, v5
	v_fma_f32 v1, -0.5, v29, v7
	v_fmac_f32_e32 v7, -0.5, v34
	v_sub_f32_e32 v33, v22, v8
	v_sub_f32_e32 v36, v8, v22
	v_add_f32_e32 v23, v23, v24
	v_add_f32_e32 v24, v26, v27
	;; [unrolled: 1-line block ×3, first 2 shown]
	v_fmamk_f32 v10, v19, 0xbf737871, v0
	v_fmac_f32_e32 v0, 0x3f737871, v19
	v_fmamk_f32 v4, v21, 0x3f737871, v6
	v_fmac_f32_e32 v6, 0xbf737871, v21
	v_add_f32_e32 v27, v5, v8
	v_fmamk_f32 v11, v30, 0x3f737871, v1
	v_fmac_f32_e32 v1, 0xbf737871, v30
	v_fmamk_f32 v5, v31, 0xbf737871, v7
	v_fmac_f32_e32 v7, 0x3f737871, v31
	v_add_f32_e32 v25, v32, v33
	v_add_f32_e32 v26, v35, v36
	v_fmac_f32_e32 v10, 0xbf167918, v21
	v_fmac_f32_e32 v0, 0x3f167918, v21
	v_fmac_f32_e32 v4, 0xbf167918, v19
	v_fmac_f32_e32 v6, 0x3f167918, v19
	v_fmac_f32_e32 v11, 0x3f167918, v31
	v_fmac_f32_e32 v1, 0xbf167918, v31
	v_fmac_f32_e32 v5, 0x3f167918, v30
	v_fmac_f32_e32 v7, 0xbf167918, v30
	v_add_f32_e32 v8, v9, v20
	v_add_f32_e32 v9, v27, v22
	v_fmac_f32_e32 v10, 0x3e9e377a, v23
	v_fmac_f32_e32 v0, 0x3e9e377a, v23
	v_fmac_f32_e32 v4, 0x3e9e377a, v24
	v_fmac_f32_e32 v6, 0x3e9e377a, v24
	v_fmac_f32_e32 v11, 0x3e9e377a, v25
	v_fmac_f32_e32 v5, 0x3e9e377a, v26
	v_fmac_f32_e32 v7, 0x3e9e377a, v26
	v_fmac_f32_e32 v1, 0x3e9e377a, v25
	ds_write2st64_b64 v15, v[8:9], v[10:11] offset1:1
	ds_write2st64_b64 v15, v[4:5], v[6:7] offset0:2 offset1:3
	ds_write_b64 v15, v[0:1] offset:2048
	s_waitcnt lgkmcnt(0)
	s_barrier
	buffer_gl0_inv
	s_and_saveexec_b32 s1, s0
	s_cbranch_execz .LBB0_17
; %bb.16:
	ds_read2st64_b64 v[8:11], v14 offset1:5
	ds_read2st64_b64 v[4:7], v14 offset0:10 offset1:15
	ds_read2st64_b64 v[0:3], v14 offset0:20 offset1:25
.LBB0_17:
	s_or_b32 exec_lo, exec_lo, s1
	v_mul_lo_u16 v14, v16, 13
	s_mul_i32 s1, s3, s22
	s_mul_hi_u32 s3, s2, s22
	s_mul_i32 s2, s2, s22
	s_add_i32 s3, s3, s1
	v_lshrrev_b16 v14, 9, v14
	v_add_co_u32 v12, s1, s2, v12
	v_add_co_ci_u32_e64 v13, s1, s3, v13, s1
	v_mul_lo_u16 v14, v14, 40
	v_add_nc_u32_e32 v21, 40, v16
	v_add_nc_u32_e32 v20, 0x50, v16
	v_lshlrev_b64 v[12:13], 3, v[12:13]
	v_add_nc_u32_e32 v19, 0xa0, v16
	v_sub_nc_u16 v14, v16, v14
	s_and_b32 s1, s0, s17
	v_and_b32_e32 v14, 0xff, v14
	v_mad_u64_u32 v[14:15], null, v14, 40, s[20:21]
	s_clause 0x2
	global_load_dwordx4 v[22:25], v[14:15], off offset:256
	global_load_dwordx4 v[26:29], v[14:15], off offset:272
	global_load_dwordx2 v[14:15], v[14:15], off offset:288
	s_waitcnt vmcnt(2) lgkmcnt(2)
	v_mul_f32_e32 v30, v11, v23
	v_mul_f32_e32 v23, v10, v23
	s_waitcnt lgkmcnt(1)
	v_mul_f32_e32 v31, v5, v25
	v_mul_f32_e32 v25, v4, v25
	s_waitcnt vmcnt(1)
	v_mul_f32_e32 v32, v7, v27
	v_mul_f32_e32 v27, v6, v27
	s_waitcnt lgkmcnt(0)
	v_mul_f32_e32 v33, v1, v29
	v_mul_f32_e32 v29, v0, v29
	s_waitcnt vmcnt(0)
	v_mul_f32_e32 v34, v3, v15
	v_mul_f32_e32 v15, v2, v15
	v_fmac_f32_e32 v30, v10, v22
	v_fma_f32 v10, v11, v22, -v23
	v_fmac_f32_e32 v31, v4, v24
	v_fma_f32 v4, v5, v24, -v25
	v_fma_f32 v5, v7, v26, -v27
	v_fmac_f32_e32 v33, v0, v28
	v_fma_f32 v0, v1, v28, -v29
	v_fma_f32 v1, v3, v14, -v15
	v_fmac_f32_e32 v32, v6, v26
	v_fmac_f32_e32 v34, v2, v14
	v_add_f32_e32 v23, v10, v5
	v_sub_f32_e32 v6, v4, v0
	v_sub_f32_e32 v22, v5, v1
	v_add_f32_e32 v5, v5, v1
	v_add_f32_e32 v7, v9, v4
	v_add_f32_e32 v4, v4, v0
	v_add_f32_e32 v15, v32, v34
	v_sub_f32_e32 v24, v32, v34
	v_fmac_f32_e32 v10, -0.5, v5
	v_add_f32_e32 v3, v31, v33
	v_sub_f32_e32 v11, v31, v33
	v_add_f32_e32 v14, v30, v32
	v_fmac_f32_e32 v9, -0.5, v4
	v_fmac_f32_e32 v30, -0.5, v15
	v_fmamk_f32 v5, v24, 0x3f5db3d7, v10
	v_fmac_f32_e32 v10, 0xbf5db3d7, v24
	v_add_f32_e32 v2, v8, v31
	v_fmac_f32_e32 v8, -0.5, v3
	v_fmamk_f32 v25, v11, 0x3f5db3d7, v9
	v_fmac_f32_e32 v9, 0xbf5db3d7, v11
	v_fmamk_f32 v4, v22, 0xbf5db3d7, v30
	v_fmac_f32_e32 v30, 0x3f5db3d7, v22
	v_mul_f32_e32 v11, 0xbf5db3d7, v5
	v_mul_f32_e32 v22, 0xbf5db3d7, v10
	v_mul_f32_e32 v24, 0.5, v5
	v_mul_f32_e32 v26, -0.5, v10
	v_add_f32_e32 v2, v2, v33
	v_add_f32_e32 v3, v7, v0
	;; [unrolled: 1-line block ×4, first 2 shown]
	v_fmamk_f32 v23, v6, 0xbf5db3d7, v8
	v_fmac_f32_e32 v8, 0x3f5db3d7, v6
	v_fmac_f32_e32 v11, 0.5, v4
	v_fmac_f32_e32 v22, -0.5, v30
	v_fmac_f32_e32 v24, 0x3f5db3d7, v4
	v_fmac_f32_e32 v26, 0x3f5db3d7, v30
	v_add_f32_e32 v14, v2, v0
	v_add_f32_e32 v15, v3, v1
	v_sub_f32_e32 v0, v2, v0
	v_sub_f32_e32 v1, v3, v1
	v_add_f32_e32 v6, v23, v11
	v_add_f32_e32 v4, v8, v22
	;; [unrolled: 1-line block ×4, first 2 shown]
	v_sub_f32_e32 v10, v23, v11
	v_sub_f32_e32 v2, v8, v22
	;; [unrolled: 1-line block ×4, first 2 shown]
	v_add_nc_u32_e32 v8, 0xc8, v16
	s_and_saveexec_b32 s2, s1
	s_cbranch_execz .LBB0_19
; %bb.18:
	v_mad_u64_u32 v[22:23], null, s10, v17, 0
	v_mad_u64_u32 v[24:25], null, s8, v16, 0
	;; [unrolled: 1-line block ×3, first 2 shown]
	v_add_co_u32 v33, s1, s14, v12
	v_mov_b32_e32 v9, v23
	v_add_co_ci_u32_e64 v34, s1, s15, v13, s1
	v_mov_b32_e32 v23, v25
	v_mad_u64_u32 v[25:26], null, s11, v17, v[9:10]
	v_mad_u64_u32 v[26:27], null, s8, v21, 0
	;; [unrolled: 1-line block ×4, first 2 shown]
	v_mov_b32_e32 v23, v25
	v_mov_b32_e32 v9, v27
	;; [unrolled: 1-line block ×4, first 2 shown]
	v_lshlrev_b64 v[22:23], 3, v[22:23]
	v_mov_b32_e32 v29, v32
	v_mad_u64_u32 v[35:36], null, s9, v20, v[27:28]
	v_lshlrev_b64 v[24:25], 3, v[24:25]
	v_add_co_u32 v39, s1, v33, v22
	v_add_co_ci_u32_e64 v40, s1, v34, v23, s1
	v_mad_u64_u32 v[33:34], null, s8, v19, 0
	v_mad_u64_u32 v[22:23], null, s9, v21, v[9:10]
	;; [unrolled: 1-line block ×4, first 2 shown]
	v_add_co_u32 v23, s1, v39, v24
	v_add_co_ci_u32_e64 v24, s1, v40, v25, s1
	v_mov_b32_e32 v9, v34
	v_mov_b32_e32 v27, v22
	;; [unrolled: 1-line block ×3, first 2 shown]
	global_store_dwordx2 v[23:24], v[14:15], off
	v_mov_b32_e32 v32, v36
	v_mad_u64_u32 v[24:25], null, s9, v19, v[9:10]
	v_mov_b32_e32 v9, v38
	v_lshlrev_b64 v[22:23], 3, v[26:27]
	v_lshlrev_b64 v[25:26], 3, v[28:29]
	v_mad_u64_u32 v[27:28], null, s9, v8, v[9:10]
	v_add_co_u32 v22, s1, v39, v22
	v_lshlrev_b64 v[28:29], 3, v[31:32]
	v_mov_b32_e32 v34, v24
	v_add_co_ci_u32_e64 v23, s1, v40, v23, s1
	v_add_co_u32 v24, s1, v39, v25
	v_mov_b32_e32 v38, v27
	v_add_co_ci_u32_e64 v25, s1, v40, v26, s1
	v_lshlrev_b64 v[30:31], 3, v[33:34]
	v_add_co_u32 v26, s1, v39, v28
	v_add_co_ci_u32_e64 v27, s1, v40, v29, s1
	v_lshlrev_b64 v[28:29], 3, v[37:38]
	v_add_co_u32 v30, s1, v39, v30
	v_add_co_ci_u32_e64 v31, s1, v40, v31, s1
	v_add_co_u32 v28, s1, v39, v28
	v_add_co_ci_u32_e64 v29, s1, v40, v29, s1
	global_store_dwordx2 v[22:23], v[6:7], off
	global_store_dwordx2 v[24:25], v[4:5], off
	;; [unrolled: 1-line block ×5, first 2 shown]
.LBB0_19:
	s_or_b32 exec_lo, exec_lo, s2
	s_xor_b32 s1, s17, -1
	s_and_b32 s0, s0, vcc_lo
	s_and_b32 s0, s1, s0
	s_and_saveexec_b32 s1, s0
	s_cbranch_execz .LBB0_21
; %bb.20:
	v_mad_u64_u32 v[22:23], null, s10, v17, 0
	v_mad_u64_u32 v[24:25], null, s8, v16, 0
	v_add_co_u32 v32, vcc_lo, s14, v12
	v_add_co_ci_u32_e32 v33, vcc_lo, s15, v13, vcc_lo
	v_mov_b32_e32 v9, v23
	v_mad_u64_u32 v[28:29], null, s8, v20, 0
	v_mov_b32_e32 v23, v25
	v_mad_u64_u32 v[30:31], null, s8, v18, 0
	v_mad_u64_u32 v[25:26], null, s11, v17, v[9:10]
	;; [unrolled: 1-line block ×4, first 2 shown]
	v_mov_b32_e32 v17, v31
	v_mov_b32_e32 v23, v25
	;; [unrolled: 1-line block ×5, first 2 shown]
	v_lshlrev_b64 v[12:13], 3, v[22:23]
	v_lshlrev_b64 v[22:23], 3, v[24:25]
	v_add_co_u32 v25, vcc_lo, v32, v12
	v_add_co_ci_u32_e32 v33, vcc_lo, v33, v13, vcc_lo
	v_mad_u64_u32 v[12:13], null, s9, v21, v[9:10]
	v_add_co_u32 v21, vcc_lo, v25, v22
	v_add_co_ci_u32_e32 v22, vcc_lo, v33, v23, vcc_lo
	v_mad_u64_u32 v[23:24], null, s8, v19, 0
	v_mad_u64_u32 v[31:32], null, s9, v20, v[16:17]
	;; [unrolled: 1-line block ×3, first 2 shown]
	v_mov_b32_e32 v27, v12
	v_mad_u64_u32 v[12:13], null, s8, v8, 0
	v_mov_b32_e32 v9, v24
	v_mov_b32_e32 v29, v31
	global_store_dwordx2 v[21:22], v[14:15], off
	v_mov_b32_e32 v31, v16
	v_lshlrev_b64 v[14:15], 3, v[26:27]
	v_mad_u64_u32 v[16:17], null, s9, v19, v[9:10]
	v_mov_b32_e32 v9, v13
	v_lshlrev_b64 v[17:18], 3, v[28:29]
	v_lshlrev_b64 v[19:20], 3, v[30:31]
	v_add_co_u32 v14, vcc_lo, v25, v14
	v_mad_u64_u32 v[8:9], null, s9, v8, v[9:10]
	v_mov_b32_e32 v24, v16
	v_add_co_ci_u32_e32 v15, vcc_lo, v33, v15, vcc_lo
	v_add_co_u32 v16, vcc_lo, v25, v17
	v_lshlrev_b64 v[21:22], 3, v[23:24]
	v_mov_b32_e32 v13, v8
	v_add_co_ci_u32_e32 v17, vcc_lo, v33, v18, vcc_lo
	v_add_co_u32 v8, vcc_lo, v25, v19
	v_lshlrev_b64 v[12:13], 3, v[12:13]
	v_add_co_ci_u32_e32 v9, vcc_lo, v33, v20, vcc_lo
	v_add_co_u32 v18, vcc_lo, v25, v21
	v_add_co_ci_u32_e32 v19, vcc_lo, v33, v22, vcc_lo
	v_add_co_u32 v12, vcc_lo, v25, v12
	v_add_co_ci_u32_e32 v13, vcc_lo, v33, v13, vcc_lo
	global_store_dwordx2 v[14:15], v[6:7], off
	global_store_dwordx2 v[16:17], v[4:5], off
	;; [unrolled: 1-line block ×5, first 2 shown]
.LBB0_21:
	s_endpgm
	.section	.rodata,"a",@progbits
	.p2align	6, 0x0
	.amdhsa_kernel fft_rtc_back_len240_factors_8_5_6_wgs_384_tpt_48_sp_op_CI_CI_sbcc_dirReg_intrinsicRead
		.amdhsa_group_segment_fixed_size 0
		.amdhsa_private_segment_fixed_size 0
		.amdhsa_kernarg_size 112
		.amdhsa_user_sgpr_count 6
		.amdhsa_user_sgpr_private_segment_buffer 1
		.amdhsa_user_sgpr_dispatch_ptr 0
		.amdhsa_user_sgpr_queue_ptr 0
		.amdhsa_user_sgpr_kernarg_segment_ptr 1
		.amdhsa_user_sgpr_dispatch_id 0
		.amdhsa_user_sgpr_flat_scratch_init 0
		.amdhsa_user_sgpr_private_segment_size 0
		.amdhsa_wavefront_size32 1
		.amdhsa_uses_dynamic_stack 0
		.amdhsa_system_sgpr_private_segment_wavefront_offset 0
		.amdhsa_system_sgpr_workgroup_id_x 1
		.amdhsa_system_sgpr_workgroup_id_y 0
		.amdhsa_system_sgpr_workgroup_id_z 0
		.amdhsa_system_sgpr_workgroup_info 0
		.amdhsa_system_vgpr_workitem_id 0
		.amdhsa_next_free_vgpr 41
		.amdhsa_next_free_sgpr 51
		.amdhsa_reserve_vcc 1
		.amdhsa_reserve_flat_scratch 0
		.amdhsa_float_round_mode_32 0
		.amdhsa_float_round_mode_16_64 0
		.amdhsa_float_denorm_mode_32 3
		.amdhsa_float_denorm_mode_16_64 3
		.amdhsa_dx10_clamp 1
		.amdhsa_ieee_mode 1
		.amdhsa_fp16_overflow 0
		.amdhsa_workgroup_processor_mode 1
		.amdhsa_memory_ordered 1
		.amdhsa_forward_progress 0
		.amdhsa_shared_vgpr_count 0
		.amdhsa_exception_fp_ieee_invalid_op 0
		.amdhsa_exception_fp_denorm_src 0
		.amdhsa_exception_fp_ieee_div_zero 0
		.amdhsa_exception_fp_ieee_overflow 0
		.amdhsa_exception_fp_ieee_underflow 0
		.amdhsa_exception_fp_ieee_inexact 0
		.amdhsa_exception_int_div_zero 0
	.end_amdhsa_kernel
	.text
.Lfunc_end0:
	.size	fft_rtc_back_len240_factors_8_5_6_wgs_384_tpt_48_sp_op_CI_CI_sbcc_dirReg_intrinsicRead, .Lfunc_end0-fft_rtc_back_len240_factors_8_5_6_wgs_384_tpt_48_sp_op_CI_CI_sbcc_dirReg_intrinsicRead
                                        ; -- End function
	.section	.AMDGPU.csdata,"",@progbits
; Kernel info:
; codeLenInByte = 4148
; NumSgprs: 53
; NumVgprs: 41
; ScratchSize: 0
; MemoryBound: 0
; FloatMode: 240
; IeeeMode: 1
; LDSByteSize: 0 bytes/workgroup (compile time only)
; SGPRBlocks: 6
; VGPRBlocks: 5
; NumSGPRsForWavesPerEU: 53
; NumVGPRsForWavesPerEU: 41
; Occupancy: 15
; WaveLimiterHint : 1
; COMPUTE_PGM_RSRC2:SCRATCH_EN: 0
; COMPUTE_PGM_RSRC2:USER_SGPR: 6
; COMPUTE_PGM_RSRC2:TRAP_HANDLER: 0
; COMPUTE_PGM_RSRC2:TGID_X_EN: 1
; COMPUTE_PGM_RSRC2:TGID_Y_EN: 0
; COMPUTE_PGM_RSRC2:TGID_Z_EN: 0
; COMPUTE_PGM_RSRC2:TIDIG_COMP_CNT: 0
	.text
	.p2alignl 6, 3214868480
	.fill 48, 4, 3214868480
	.type	__hip_cuid_5bc980513f563858,@object ; @__hip_cuid_5bc980513f563858
	.section	.bss,"aw",@nobits
	.globl	__hip_cuid_5bc980513f563858
__hip_cuid_5bc980513f563858:
	.byte	0                               ; 0x0
	.size	__hip_cuid_5bc980513f563858, 1

	.ident	"AMD clang version 19.0.0git (https://github.com/RadeonOpenCompute/llvm-project roc-6.4.0 25133 c7fe45cf4b819c5991fe208aaa96edf142730f1d)"
	.section	".note.GNU-stack","",@progbits
	.addrsig
	.addrsig_sym __hip_cuid_5bc980513f563858
	.amdgpu_metadata
---
amdhsa.kernels:
  - .args:
      - .actual_access:  read_only
        .address_space:  global
        .offset:         0
        .size:           8
        .value_kind:     global_buffer
      - .address_space:  global
        .offset:         8
        .size:           8
        .value_kind:     global_buffer
      - .offset:         16
        .size:           8
        .value_kind:     by_value
      - .actual_access:  read_only
        .address_space:  global
        .offset:         24
        .size:           8
        .value_kind:     global_buffer
      - .actual_access:  read_only
        .address_space:  global
        .offset:         32
        .size:           8
        .value_kind:     global_buffer
      - .actual_access:  read_only
        .address_space:  global
        .offset:         40
        .size:           8
        .value_kind:     global_buffer
      - .offset:         48
        .size:           8
        .value_kind:     by_value
      - .actual_access:  read_only
        .address_space:  global
        .offset:         56
        .size:           8
        .value_kind:     global_buffer
      - .actual_access:  read_only
        .address_space:  global
        .offset:         64
        .size:           8
        .value_kind:     global_buffer
      - .offset:         72
        .size:           4
        .value_kind:     by_value
      - .actual_access:  read_only
        .address_space:  global
        .offset:         80
        .size:           8
        .value_kind:     global_buffer
      - .actual_access:  read_only
        .address_space:  global
        .offset:         88
        .size:           8
        .value_kind:     global_buffer
      - .address_space:  global
        .offset:         96
        .size:           8
        .value_kind:     global_buffer
      - .actual_access:  write_only
        .address_space:  global
        .offset:         104
        .size:           8
        .value_kind:     global_buffer
    .group_segment_fixed_size: 0
    .kernarg_segment_align: 8
    .kernarg_segment_size: 112
    .language:       OpenCL C
    .language_version:
      - 2
      - 0
    .max_flat_workgroup_size: 384
    .name:           fft_rtc_back_len240_factors_8_5_6_wgs_384_tpt_48_sp_op_CI_CI_sbcc_dirReg_intrinsicRead
    .private_segment_fixed_size: 0
    .sgpr_count:     53
    .sgpr_spill_count: 0
    .symbol:         fft_rtc_back_len240_factors_8_5_6_wgs_384_tpt_48_sp_op_CI_CI_sbcc_dirReg_intrinsicRead.kd
    .uniform_work_group_size: 1
    .uses_dynamic_stack: false
    .vgpr_count:     41
    .vgpr_spill_count: 0
    .wavefront_size: 32
    .workgroup_processor_mode: 1
amdhsa.target:   amdgcn-amd-amdhsa--gfx1030
amdhsa.version:
  - 1
  - 2
...

	.end_amdgpu_metadata
